;; amdgpu-corpus repo=ROCm/rocFFT kind=compiled arch=gfx906 opt=O3
	.text
	.amdgcn_target "amdgcn-amd-amdhsa--gfx906"
	.amdhsa_code_object_version 6
	.protected	fft_rtc_back_len1456_factors_13_4_7_2_2_wgs_182_tpt_182_halfLds_half_op_CI_CI_unitstride_sbrr_C2R_dirReg ; -- Begin function fft_rtc_back_len1456_factors_13_4_7_2_2_wgs_182_tpt_182_halfLds_half_op_CI_CI_unitstride_sbrr_C2R_dirReg
	.globl	fft_rtc_back_len1456_factors_13_4_7_2_2_wgs_182_tpt_182_halfLds_half_op_CI_CI_unitstride_sbrr_C2R_dirReg
	.p2align	8
	.type	fft_rtc_back_len1456_factors_13_4_7_2_2_wgs_182_tpt_182_halfLds_half_op_CI_CI_unitstride_sbrr_C2R_dirReg,@function
fft_rtc_back_len1456_factors_13_4_7_2_2_wgs_182_tpt_182_halfLds_half_op_CI_CI_unitstride_sbrr_C2R_dirReg: ; @fft_rtc_back_len1456_factors_13_4_7_2_2_wgs_182_tpt_182_halfLds_half_op_CI_CI_unitstride_sbrr_C2R_dirReg
; %bb.0:
	s_load_dwordx4 s[8:11], s[4:5], 0x58
	s_load_dwordx4 s[12:15], s[4:5], 0x0
	;; [unrolled: 1-line block ×3, first 2 shown]
	v_mul_u32_u24_e32 v1, 0x169, v0
	v_mov_b32_e32 v8, 0
	v_mov_b32_e32 v6, 0
	s_waitcnt lgkmcnt(0)
	v_cmp_lt_u64_e64 s[0:1], s[14:15], 2
	v_add_u32_sdwa v10, s6, v1 dst_sel:DWORD dst_unused:UNUSED_PAD src0_sel:DWORD src1_sel:WORD_1
	v_mov_b32_e32 v11, v8
	s_and_b64 vcc, exec, s[0:1]
	v_mov_b32_e32 v7, 0
	s_cbranch_vccnz .LBB0_8
; %bb.1:
	s_load_dwordx2 s[0:1], s[4:5], 0x10
	s_add_u32 s2, s18, 8
	s_addc_u32 s3, s19, 0
	s_add_u32 s6, s16, 8
	s_addc_u32 s7, s17, 0
	v_mov_b32_e32 v6, 0
	s_waitcnt lgkmcnt(0)
	s_add_u32 s20, s0, 8
	v_mov_b32_e32 v7, 0
	v_mov_b32_e32 v1, v6
	s_addc_u32 s21, s1, 0
	s_mov_b64 s[22:23], 1
	v_mov_b32_e32 v2, v7
.LBB0_2:                                ; =>This Inner Loop Header: Depth=1
	s_load_dwordx2 s[24:25], s[20:21], 0x0
                                        ; implicit-def: $vgpr3_vgpr4
	s_waitcnt lgkmcnt(0)
	v_or_b32_e32 v9, s25, v11
	v_cmp_ne_u64_e32 vcc, 0, v[8:9]
	s_and_saveexec_b64 s[0:1], vcc
	s_xor_b64 s[26:27], exec, s[0:1]
	s_cbranch_execz .LBB0_4
; %bb.3:                                ;   in Loop: Header=BB0_2 Depth=1
	v_cvt_f32_u32_e32 v3, s24
	v_cvt_f32_u32_e32 v4, s25
	s_sub_u32 s0, 0, s24
	s_subb_u32 s1, 0, s25
	v_mac_f32_e32 v3, 0x4f800000, v4
	v_rcp_f32_e32 v3, v3
	v_mul_f32_e32 v3, 0x5f7ffffc, v3
	v_mul_f32_e32 v4, 0x2f800000, v3
	v_trunc_f32_e32 v4, v4
	v_mac_f32_e32 v3, 0xcf800000, v4
	v_cvt_u32_f32_e32 v4, v4
	v_cvt_u32_f32_e32 v3, v3
	v_mul_lo_u32 v5, s0, v4
	v_mul_hi_u32 v9, s0, v3
	v_mul_lo_u32 v13, s1, v3
	v_mul_lo_u32 v12, s0, v3
	v_add_u32_e32 v5, v9, v5
	v_add_u32_e32 v5, v5, v13
	v_mul_hi_u32 v9, v3, v12
	v_mul_lo_u32 v13, v3, v5
	v_mul_hi_u32 v15, v3, v5
	v_mul_hi_u32 v14, v4, v12
	v_mul_lo_u32 v12, v4, v12
	v_mul_hi_u32 v16, v4, v5
	v_add_co_u32_e32 v9, vcc, v9, v13
	v_addc_co_u32_e32 v13, vcc, 0, v15, vcc
	v_mul_lo_u32 v5, v4, v5
	v_add_co_u32_e32 v9, vcc, v9, v12
	v_addc_co_u32_e32 v9, vcc, v13, v14, vcc
	v_addc_co_u32_e32 v12, vcc, 0, v16, vcc
	v_add_co_u32_e32 v5, vcc, v9, v5
	v_addc_co_u32_e32 v9, vcc, 0, v12, vcc
	v_add_co_u32_e32 v3, vcc, v3, v5
	v_addc_co_u32_e32 v4, vcc, v4, v9, vcc
	v_mul_lo_u32 v5, s0, v4
	v_mul_hi_u32 v9, s0, v3
	v_mul_lo_u32 v12, s1, v3
	v_mul_lo_u32 v13, s0, v3
	v_add_u32_e32 v5, v9, v5
	v_add_u32_e32 v5, v5, v12
	v_mul_lo_u32 v14, v3, v5
	v_mul_hi_u32 v15, v3, v13
	v_mul_hi_u32 v16, v3, v5
	v_mul_hi_u32 v12, v4, v13
	v_mul_lo_u32 v13, v4, v13
	v_mul_hi_u32 v9, v4, v5
	v_add_co_u32_e32 v14, vcc, v15, v14
	v_addc_co_u32_e32 v15, vcc, 0, v16, vcc
	v_mul_lo_u32 v5, v4, v5
	v_add_co_u32_e32 v13, vcc, v14, v13
	v_addc_co_u32_e32 v12, vcc, v15, v12, vcc
	v_addc_co_u32_e32 v9, vcc, 0, v9, vcc
	v_add_co_u32_e32 v5, vcc, v12, v5
	v_addc_co_u32_e32 v9, vcc, 0, v9, vcc
	v_add_co_u32_e32 v5, vcc, v3, v5
	v_addc_co_u32_e32 v9, vcc, v4, v9, vcc
	v_mad_u64_u32 v[3:4], s[0:1], v10, v9, 0
	v_mul_hi_u32 v12, v10, v5
	v_add_co_u32_e32 v14, vcc, v12, v3
	v_addc_co_u32_e32 v15, vcc, 0, v4, vcc
	v_mad_u64_u32 v[3:4], s[0:1], v11, v5, 0
	v_mad_u64_u32 v[12:13], s[0:1], v11, v9, 0
	v_add_co_u32_e32 v3, vcc, v14, v3
	v_addc_co_u32_e32 v3, vcc, v15, v4, vcc
	v_addc_co_u32_e32 v4, vcc, 0, v13, vcc
	v_add_co_u32_e32 v5, vcc, v3, v12
	v_addc_co_u32_e32 v9, vcc, 0, v4, vcc
	v_mul_lo_u32 v12, s25, v5
	v_mul_lo_u32 v13, s24, v9
	v_mad_u64_u32 v[3:4], s[0:1], s24, v5, 0
	v_add3_u32 v4, v4, v13, v12
	v_sub_u32_e32 v12, v11, v4
	v_mov_b32_e32 v13, s25
	v_sub_co_u32_e32 v3, vcc, v10, v3
	v_subb_co_u32_e64 v12, s[0:1], v12, v13, vcc
	v_subrev_co_u32_e64 v13, s[0:1], s24, v3
	v_subbrev_co_u32_e64 v12, s[0:1], 0, v12, s[0:1]
	v_cmp_le_u32_e64 s[0:1], s25, v12
	v_cndmask_b32_e64 v14, 0, -1, s[0:1]
	v_cmp_le_u32_e64 s[0:1], s24, v13
	v_cndmask_b32_e64 v13, 0, -1, s[0:1]
	v_cmp_eq_u32_e64 s[0:1], s25, v12
	v_cndmask_b32_e64 v12, v14, v13, s[0:1]
	v_add_co_u32_e64 v13, s[0:1], 2, v5
	v_addc_co_u32_e64 v14, s[0:1], 0, v9, s[0:1]
	v_add_co_u32_e64 v15, s[0:1], 1, v5
	v_addc_co_u32_e64 v16, s[0:1], 0, v9, s[0:1]
	v_subb_co_u32_e32 v4, vcc, v11, v4, vcc
	v_cmp_ne_u32_e64 s[0:1], 0, v12
	v_cmp_le_u32_e32 vcc, s25, v4
	v_cndmask_b32_e64 v12, v16, v14, s[0:1]
	v_cndmask_b32_e64 v14, 0, -1, vcc
	v_cmp_le_u32_e32 vcc, s24, v3
	v_cndmask_b32_e64 v3, 0, -1, vcc
	v_cmp_eq_u32_e32 vcc, s25, v4
	v_cndmask_b32_e32 v3, v14, v3, vcc
	v_cmp_ne_u32_e32 vcc, 0, v3
	v_cndmask_b32_e64 v3, v15, v13, s[0:1]
	v_cndmask_b32_e32 v4, v9, v12, vcc
	v_cndmask_b32_e32 v3, v5, v3, vcc
.LBB0_4:                                ;   in Loop: Header=BB0_2 Depth=1
	s_andn2_saveexec_b64 s[0:1], s[26:27]
	s_cbranch_execz .LBB0_6
; %bb.5:                                ;   in Loop: Header=BB0_2 Depth=1
	v_cvt_f32_u32_e32 v3, s24
	s_sub_i32 s26, 0, s24
	v_rcp_iflag_f32_e32 v3, v3
	v_mul_f32_e32 v3, 0x4f7ffffe, v3
	v_cvt_u32_f32_e32 v3, v3
	v_mul_lo_u32 v4, s26, v3
	v_mul_hi_u32 v4, v3, v4
	v_add_u32_e32 v3, v3, v4
	v_mul_hi_u32 v3, v10, v3
	v_mul_lo_u32 v4, v3, s24
	v_add_u32_e32 v5, 1, v3
	v_sub_u32_e32 v4, v10, v4
	v_subrev_u32_e32 v9, s24, v4
	v_cmp_le_u32_e32 vcc, s24, v4
	v_cndmask_b32_e32 v4, v4, v9, vcc
	v_cndmask_b32_e32 v3, v3, v5, vcc
	v_add_u32_e32 v5, 1, v3
	v_cmp_le_u32_e32 vcc, s24, v4
	v_cndmask_b32_e32 v3, v3, v5, vcc
	v_mov_b32_e32 v4, v8
.LBB0_6:                                ;   in Loop: Header=BB0_2 Depth=1
	s_or_b64 exec, exec, s[0:1]
	v_mul_lo_u32 v5, v4, s24
	v_mul_lo_u32 v9, v3, s25
	v_mad_u64_u32 v[12:13], s[0:1], v3, s24, 0
	s_load_dwordx2 s[0:1], s[6:7], 0x0
	s_load_dwordx2 s[24:25], s[2:3], 0x0
	v_add3_u32 v5, v13, v9, v5
	v_sub_co_u32_e32 v9, vcc, v10, v12
	v_subb_co_u32_e32 v5, vcc, v11, v5, vcc
	s_waitcnt lgkmcnt(0)
	v_mul_lo_u32 v10, s0, v5
	v_mul_lo_u32 v11, s1, v9
	v_mad_u64_u32 v[6:7], s[0:1], s0, v9, v[6:7]
	s_add_u32 s22, s22, 1
	s_addc_u32 s23, s23, 0
	s_add_u32 s2, s2, 8
	v_mul_lo_u32 v5, s24, v5
	v_mul_lo_u32 v12, s25, v9
	v_mad_u64_u32 v[1:2], s[0:1], s24, v9, v[1:2]
	v_add3_u32 v7, v11, v7, v10
	s_addc_u32 s3, s3, 0
	v_mov_b32_e32 v9, s14
	s_add_u32 s6, s6, 8
	v_mov_b32_e32 v10, s15
	s_addc_u32 s7, s7, 0
	v_cmp_ge_u64_e32 vcc, s[22:23], v[9:10]
	s_add_u32 s20, s20, 8
	v_add3_u32 v2, v12, v2, v5
	s_addc_u32 s21, s21, 0
	s_cbranch_vccnz .LBB0_9
; %bb.7:                                ;   in Loop: Header=BB0_2 Depth=1
	v_mov_b32_e32 v11, v4
	v_mov_b32_e32 v10, v3
	s_branch .LBB0_2
.LBB0_8:
	v_mov_b32_e32 v1, v6
	v_mov_b32_e32 v3, v10
	;; [unrolled: 1-line block ×4, first 2 shown]
.LBB0_9:
	s_load_dwordx2 s[4:5], s[4:5], 0x28
	s_lshl_b64 s[6:7], s[14:15], 3
	s_add_u32 s2, s18, s6
	s_addc_u32 s3, s19, s7
                                        ; implicit-def: $vgpr5
                                        ; implicit-def: $vgpr8_vgpr9
	s_waitcnt lgkmcnt(0)
	v_cmp_gt_u64_e64 s[0:1], s[4:5], v[3:4]
	v_cmp_le_u64_e32 vcc, s[4:5], v[3:4]
	s_and_saveexec_b64 s[4:5], vcc
	s_xor_b64 s[4:5], exec, s[4:5]
; %bb.10:
	s_mov_b32 s14, 0x1681682
	v_mul_hi_u32 v5, v0, s14
	v_mov_b32_e32 v6, 0
	v_mul_u32_u24_e32 v5, 0xb6, v5
	v_sub_u32_e32 v5, v0, v5
	v_mov_b32_e32 v9, v6
	v_mov_b32_e32 v8, v5
                                        ; implicit-def: $vgpr0
                                        ; implicit-def: $vgpr6_vgpr7
; %bb.11:
	s_or_saveexec_b64 s[4:5], s[4:5]
	s_load_dwordx2 s[2:3], s[2:3], 0x0
	s_xor_b64 exec, exec, s[4:5]
	s_cbranch_execz .LBB0_15
; %bb.12:
	s_add_u32 s6, s16, s6
	s_addc_u32 s7, s17, s7
	s_load_dwordx2 s[6:7], s[6:7], 0x0
	s_mov_b32 s14, 0x1681682
	v_mul_hi_u32 v5, v0, s14
	s_waitcnt lgkmcnt(0)
	v_mul_lo_u32 v10, s7, v3
	v_mul_lo_u32 v11, s6, v4
	v_mad_u64_u32 v[8:9], s[6:7], s6, v3, 0
	v_mul_u32_u24_e32 v5, 0xb6, v5
	v_sub_u32_e32 v5, v0, v5
	v_add3_u32 v9, v9, v11, v10
	v_lshlrev_b64 v[8:9], 2, v[8:9]
	v_mov_b32_e32 v0, s9
	v_add_co_u32_e32 v10, vcc, s8, v8
	v_lshlrev_b64 v[7:8], 2, v[6:7]
	v_addc_co_u32_e32 v0, vcc, v0, v9, vcc
	v_add_co_u32_e32 v7, vcc, v10, v7
	v_addc_co_u32_e32 v0, vcc, v0, v8, vcc
	v_lshlrev_b32_e32 v12, 2, v5
	v_add_co_u32_e32 v8, vcc, v7, v12
	v_addc_co_u32_e32 v9, vcc, 0, v0, vcc
	v_add_co_u32_e32 v10, vcc, 0x1000, v8
	v_addc_co_u32_e32 v11, vcc, 0, v9, vcc
	global_load_dword v13, v[8:9], off
	global_load_dword v14, v[8:9], off offset:728
	global_load_dword v15, v[8:9], off offset:1456
	;; [unrolled: 1-line block ×7, first 2 shown]
	v_add_u32_e32 v8, 0, v12
	v_mov_b32_e32 v6, 0
	v_add_u32_e32 v9, 0x500, v8
	s_movk_i32 s6, 0xb5
	v_add_u32_e32 v10, 0xb00, v8
	v_add_u32_e32 v11, 0x1000, v8
	v_cmp_eq_u32_e32 vcc, s6, v5
	s_waitcnt vmcnt(6)
	ds_write2_b32 v8, v13, v14 offset1:182
	s_waitcnt vmcnt(4)
	ds_write2_b32 v9, v15, v16 offset0:44 offset1:226
	s_waitcnt vmcnt(2)
	ds_write2_b32 v10, v17, v18 offset0:24 offset1:206
	;; [unrolled: 2-line block ×3, first 2 shown]
	v_mov_b32_e32 v9, v6
	v_mov_b32_e32 v8, v5
	s_and_saveexec_b64 s[6:7], vcc
	s_cbranch_execz .LBB0_14
; %bb.13:
	v_add_co_u32_e32 v7, vcc, 0x1000, v7
	v_addc_co_u32_e32 v8, vcc, 0, v0, vcc
	global_load_dword v0, v[7:8], off offset:1728
	v_mov_b32_e32 v8, 0xb5
	v_mov_b32_e32 v9, 0
	;; [unrolled: 1-line block ×3, first 2 shown]
	s_waitcnt vmcnt(0)
	ds_write_b32 v6, v0 offset:5824
.LBB0_14:
	s_or_b64 exec, exec, s[6:7]
.LBB0_15:
	s_or_b64 exec, exec, s[4:5]
	v_lshlrev_b32_e32 v6, 2, v5
	v_add_u32_e32 v0, 0, v6
	s_waitcnt lgkmcnt(0)
	s_barrier
	v_sub_u32_e32 v11, 0, v6
	ds_read_u16 v6, v0
	ds_read_u16 v10, v11 offset:5824
	s_add_u32 s6, s12, 0x168c
	v_lshlrev_b64 v[7:8], 2, v[8:9]
	s_addc_u32 s7, s13, 0
	v_cmp_ne_u32_e32 vcc, 0, v5
	s_waitcnt lgkmcnt(0)
	v_add_f16_e32 v12, v10, v6
	v_sub_f16_e32 v14, v6, v10
	s_and_saveexec_b64 s[4:5], vcc
	s_xor_b64 s[4:5], exec, s[4:5]
	s_cbranch_execz .LBB0_17
; %bb.16:
	v_mov_b32_e32 v9, s7
	v_add_co_u32_e32 v12, vcc, s6, v7
	v_addc_co_u32_e32 v13, vcc, v9, v8, vcc
	global_load_dword v9, v[12:13], off
	ds_read_u16 v12, v11 offset:5826
	ds_read_u16 v13, v0 offset:2
	v_add_f16_e32 v14, v10, v6
	v_sub_f16_e32 v6, v6, v10
	s_waitcnt lgkmcnt(0)
	v_add_f16_e32 v10, v12, v13
	v_sub_f16_e32 v12, v13, v12
	s_waitcnt vmcnt(0)
	v_lshrrev_b32_e32 v13, 16, v9
	v_fma_f16 v15, v6, v13, v14
	v_fma_f16 v16, v10, v13, v12
	v_fma_f16 v17, -v6, v13, v14
	v_fma_f16 v13, v10, v13, -v12
	v_fma_f16 v12, -v9, v10, v15
	v_fma_f16 v14, v6, v9, v16
	v_fma_f16 v10, v9, v10, v17
	;; [unrolled: 1-line block ×3, first 2 shown]
	v_pack_b32_f16 v6, v10, v6
	ds_write_b32 v11, v6 offset:5824
.LBB0_17:
	s_andn2_saveexec_b64 s[4:5], s[4:5]
	s_cbranch_execz .LBB0_19
; %bb.18:
	v_mov_b32_e32 v6, 0
	ds_read_b32 v9, v6 offset:2912
	s_mov_b32 s8, 0xc0004000
	s_waitcnt lgkmcnt(0)
	v_pk_mul_f16 v9, v9, s8
	ds_write_b32 v6, v9 offset:2912
.LBB0_19:
	s_or_b64 exec, exec, s[4:5]
	v_mov_b32_e32 v6, 0
	v_lshlrev_b64 v[9:10], 2, v[5:6]
	v_mov_b32_e32 v6, s7
	v_add_co_u32_e32 v15, vcc, s6, v9
	v_addc_co_u32_e32 v16, vcc, v6, v10, vcc
	global_load_dword v6, v[15:16], off offset:728
	global_load_dword v17, v[15:16], off offset:1456
	;; [unrolled: 1-line block ×3, first 2 shown]
	s_mov_b32 s6, 0x5040100
	v_perm_b32 v12, v14, v12, s6
	ds_write_b32 v0, v12
	ds_read_b32 v12, v0 offset:728
	ds_read_b32 v14, v11 offset:5096
	v_add_u32_e32 v15, 0x200, v0
	v_add_u32_e32 v13, 0x1000, v0
	;; [unrolled: 1-line block ×3, first 2 shown]
	s_mov_b32 s4, 0xbbf1
	s_waitcnt lgkmcnt(0)
	v_add_f16_e32 v16, v12, v14
	v_add_f16_sdwa v19, v14, v12 dst_sel:DWORD dst_unused:UNUSED_PAD src0_sel:WORD_1 src1_sel:WORD_1
	v_sub_f16_e32 v20, v12, v14
	v_sub_f16_sdwa v12, v12, v14 dst_sel:DWORD dst_unused:UNUSED_PAD src0_sel:WORD_1 src1_sel:WORD_1
	s_mov_b32 s16, 0xbb7b
	s_movk_i32 s7, 0x2fb7
	s_mov_b32 s15, 0xb3a8
	s_mov_b32 s9, 0xb5ac
	s_movk_i32 s5, 0x394e
	s_mov_b32 s8, 0xbbc4
	s_mov_b32 s14, 0xb9fd
	s_movk_i32 s23, 0x3b7b
	s_movk_i32 s18, 0x3770
	;; [unrolled: 1-line block ×3, first 2 shown]
	s_mov_b32 s24, 0xba95
	s_movk_i32 s19, 0x388b
	s_movk_i32 s25, 0x33a8
	s_mov_b32 s20, 0xb94e
	s_movk_i32 s21, 0x3a95
	s_movk_i32 s22, 0x3bf1
	s_mov_b32 s26, 0x394ebbf1
	s_mov_b32 s27, 0x3bf133a8
	;; [unrolled: 1-line block ×3, first 2 shown]
	s_waitcnt vmcnt(2)
	v_lshrrev_b32_e32 v14, 16, v6
	v_fma_f16 v21, v20, v14, v16
	v_fma_f16 v22, v19, v14, v12
	v_fma_f16 v16, -v20, v14, v16
	v_fma_f16 v12, v19, v14, -v12
	v_fma_f16 v14, -v6, v19, v21
	v_fma_f16 v21, v20, v6, v22
	v_fma_f16 v16, v6, v19, v16
	;; [unrolled: 1-line block ×3, first 2 shown]
	v_pack_b32_f16 v12, v14, v21
	v_pack_b32_f16 v6, v16, v6
	ds_write_b32 v0, v12 offset:728
	ds_write_b32 v11, v6 offset:5096
	ds_read_b32 v6, v0 offset:1456
	ds_read_b32 v12, v11 offset:4368
	s_waitcnt vmcnt(1)
	v_lshrrev_b32_e32 v14, 16, v17
	s_waitcnt lgkmcnt(0)
	v_add_f16_e32 v16, v6, v12
	v_add_f16_sdwa v19, v12, v6 dst_sel:DWORD dst_unused:UNUSED_PAD src0_sel:WORD_1 src1_sel:WORD_1
	v_sub_f16_e32 v20, v6, v12
	v_sub_f16_sdwa v6, v6, v12 dst_sel:DWORD dst_unused:UNUSED_PAD src0_sel:WORD_1 src1_sel:WORD_1
	v_fma_f16 v12, v20, v14, v16
	v_fma_f16 v21, v19, v14, v6
	v_fma_f16 v16, -v20, v14, v16
	v_fma_f16 v6, v19, v14, -v6
	v_fma_f16 v12, -v17, v19, v12
	v_fma_f16 v14, v20, v17, v21
	v_fma_f16 v16, v17, v19, v16
	v_fma_f16 v6, v20, v17, v6
	v_pack_b32_f16 v12, v12, v14
	v_pack_b32_f16 v6, v16, v6
	ds_write_b32 v0, v12 offset:1456
	ds_write_b32 v11, v6 offset:4368
	ds_read_b32 v6, v0 offset:2184
	ds_read_b32 v12, v11 offset:3640
	s_waitcnt vmcnt(0)
	v_lshrrev_b32_e32 v16, 16, v18
	v_add_u32_e32 v14, 0xc00, v0
	s_waitcnt lgkmcnt(0)
	v_add_f16_e32 v17, v6, v12
	v_add_f16_sdwa v19, v12, v6 dst_sel:DWORD dst_unused:UNUSED_PAD src0_sel:WORD_1 src1_sel:WORD_1
	v_sub_f16_e32 v20, v6, v12
	v_sub_f16_sdwa v6, v6, v12 dst_sel:DWORD dst_unused:UNUSED_PAD src0_sel:WORD_1 src1_sel:WORD_1
	v_fma_f16 v12, v20, v16, v17
	v_fma_f16 v21, v19, v16, v6
	v_fma_f16 v17, -v20, v16, v17
	v_fma_f16 v6, v19, v16, -v6
	v_fma_f16 v12, -v18, v19, v12
	v_fma_f16 v16, v20, v18, v21
	v_fma_f16 v17, v18, v19, v17
	;; [unrolled: 1-line block ×3, first 2 shown]
	v_pack_b32_f16 v12, v12, v16
	v_pack_b32_f16 v6, v17, v6
	ds_write_b32 v0, v12 offset:2184
	ds_write_b32 v11, v6 offset:3640
	s_waitcnt lgkmcnt(0)
	s_barrier
	s_barrier
	ds_read_b32 v39, v0 offset:5376
	ds_read2_b32 v[17:18], v0 offset1:112
	ds_read2_b32 v[23:24], v15 offset0:96 offset1:208
	ds_read2_b32 v[19:20], v13 offset0:96 offset1:208
	;; [unrolled: 1-line block ×4, first 2 shown]
	s_waitcnt lgkmcnt(4)
	v_pk_add_f16 v36, v18, v39 neg_lo:[0,1] neg_hi:[0,1]
	v_pk_add_f16 v35, v39, v18
	s_waitcnt lgkmcnt(2)
	v_pk_add_f16 v37, v23, v20 neg_lo:[0,1] neg_hi:[0,1]
	v_mul_f16_sdwa v46, v36, s4 dst_sel:DWORD dst_unused:UNUSED_PAD src0_sel:WORD_1 src1_sel:DWORD
	v_mul_f16_sdwa v51, v36, s16 dst_sel:DWORD dst_unused:UNUSED_PAD src0_sel:WORD_1 src1_sel:DWORD
	v_pk_add_f16 v34, v20, v23
	v_pk_add_f16 v38, v24, v19 neg_lo:[0,1] neg_hi:[0,1]
	v_mul_f16_sdwa v45, v37, s15 dst_sel:DWORD dst_unused:UNUSED_PAD src0_sel:WORD_1 src1_sel:DWORD
	v_mul_f16_sdwa v49, v37, s5 dst_sel:DWORD dst_unused:UNUSED_PAD src0_sel:WORD_1 src1_sel:DWORD
	v_fma_f16 v6, v35, s7, -v46
	v_fma_f16 v12, v35, s9, -v51
	v_pk_add_f16 v33, v19, v24
	v_mul_f16_sdwa v47, v38, s23 dst_sel:DWORD dst_unused:UNUSED_PAD src0_sel:WORD_1 src1_sel:DWORD
	v_mul_f16_sdwa v50, v38, s18 dst_sel:DWORD dst_unused:UNUSED_PAD src0_sel:WORD_1 src1_sel:DWORD
	v_fma_f16 v11, v34, s8, -v45
	v_fma_f16 v14, v34, s14, -v49
	v_add_f16_e32 v6, v17, v6
	v_add_f16_e32 v12, v17, v12
	s_waitcnt lgkmcnt(0)
	v_pk_add_f16 v41, v25, v22 neg_lo:[0,1] neg_hi:[0,1]
	v_fma_f16 v15, v33, s9, -v47
	v_add_f16_e32 v6, v11, v6
	v_add_f16_e32 v11, v14, v12
	v_fma_f16 v12, v33, s17, -v50
	v_pk_add_f16 v40, v22, v25
	v_mul_f16_sdwa v52, v41, s18 dst_sel:DWORD dst_unused:UNUSED_PAD src0_sel:WORD_1 src1_sel:DWORD
	v_add_f16_e32 v6, v15, v6
	v_add_f16_e32 v11, v12, v11
	v_fma_f16 v12, v40, s17, -v52
	v_mul_f16_sdwa v54, v41, s4 dst_sel:DWORD dst_unused:UNUSED_PAD src0_sel:WORD_1 src1_sel:DWORD
	v_pk_add_f16 v43, v26, v21 neg_lo:[0,1] neg_hi:[0,1]
	v_add_f16_e32 v6, v12, v6
	v_fma_f16 v12, v40, s7, -v54
	v_pk_add_f16 v42, v21, v26
	v_mul_f16_sdwa v53, v43, s24 dst_sel:DWORD dst_unused:UNUSED_PAD src0_sel:WORD_1 src1_sel:DWORD
	v_add_f16_e32 v11, v12, v11
	v_fma_f16 v12, v42, s19, -v53
	v_add_f16_e32 v6, v12, v6
	v_add_u32_e32 v12, 0xa00, v0
	ds_read2_b32 v[27:28], v12 offset0:32 offset1:144
	v_mul_f16_sdwa v55, v43, s25 dst_sel:DWORD dst_unused:UNUSED_PAD src0_sel:WORD_1 src1_sel:DWORD
	v_fma_f16 v12, v42, s8, -v55
	v_add_f16_e32 v11, v12, v11
	v_mul_f16_sdwa v57, v36, s24 dst_sel:DWORD dst_unused:UNUSED_PAD src0_sel:WORD_1 src1_sel:DWORD
	s_waitcnt lgkmcnt(0)
	v_pk_add_f16 v48, v27, v28 neg_lo:[0,1] neg_hi:[0,1]
	v_pk_add_f16 v44, v28, v27
	v_mul_f16_sdwa v56, v48, s20 dst_sel:DWORD dst_unused:UNUSED_PAD src0_sel:WORD_1 src1_sel:DWORD
	v_fma_f16 v12, v44, s14, -v56
	v_mul_f16_sdwa v60, v48, s21 dst_sel:DWORD dst_unused:UNUSED_PAD src0_sel:WORD_1 src1_sel:DWORD
	v_add_f16_e32 v12, v12, v6
	v_fma_f16 v6, v44, s19, -v60
	v_add_f16_e32 v11, v6, v11
	v_fma_f16 v6, v35, s19, -v57
	v_mul_f16_sdwa v58, v37, s16 dst_sel:DWORD dst_unused:UNUSED_PAD src0_sel:WORD_1 src1_sel:DWORD
	v_add_f16_e32 v6, v17, v6
	v_fma_f16 v14, v34, s9, -v58
	v_mul_f16_sdwa v62, v35, s7 dst_sel:DWORD dst_unused:UNUSED_PAD src0_sel:WORD_1 src1_sel:DWORD
	v_add_f16_e32 v6, v14, v6
	v_fma_f16 v14, v36, s4, v62
	v_mul_f16_sdwa v63, v34, s8 dst_sel:DWORD dst_unused:UNUSED_PAD src0_sel:WORD_1 src1_sel:DWORD
	v_add_f16_sdwa v14, v17, v14 dst_sel:DWORD dst_unused:UNUSED_PAD src0_sel:WORD_1 src1_sel:DWORD
	v_fma_f16 v15, v37, s15, v63
	v_mul_f16_sdwa v75, v36, s20 dst_sel:DWORD dst_unused:UNUSED_PAD src0_sel:WORD_1 src1_sel:DWORD
	v_add_f16_e32 v14, v15, v14
	v_fma_f16 v15, v35, s14, -v75
	v_mul_f16_sdwa v76, v37, s22 dst_sel:DWORD dst_unused:UNUSED_PAD src0_sel:WORD_1 src1_sel:DWORD
	v_add_f16_e32 v15, v17, v15
	v_fma_f16 v16, v34, s7, -v76
	v_mul_f16_sdwa v88, v35, s14 dst_sel:DWORD dst_unused:UNUSED_PAD src0_sel:WORD_1 src1_sel:DWORD
	v_add_f16_e32 v15, v16, v15
	v_fma_f16 v16, v36, s20, v88
	v_mul_f16_sdwa v87, v34, s7 dst_sel:DWORD dst_unused:UNUSED_PAD src0_sel:WORD_1 src1_sel:DWORD
	v_add_f16_sdwa v16, v17, v16 dst_sel:DWORD dst_unused:UNUSED_PAD src0_sel:WORD_1 src1_sel:DWORD
	v_fma_f16 v29, v37, s22, v87
	v_mul_f16_sdwa v59, v38, s15 dst_sel:DWORD dst_unused:UNUSED_PAD src0_sel:WORD_1 src1_sel:DWORD
	v_add_f16_e32 v16, v29, v16
	v_fma_f16 v29, v33, s8, -v59
	v_mul_f16_sdwa v68, v33, s9 dst_sel:DWORD dst_unused:UNUSED_PAD src0_sel:WORD_1 src1_sel:DWORD
	v_add_f16_e32 v6, v29, v6
	v_fma_f16 v29, v38, s23, v68
	v_mul_f16_sdwa v77, v38, s24 dst_sel:DWORD dst_unused:UNUSED_PAD src0_sel:WORD_1 src1_sel:DWORD
	v_add_f16_e32 v14, v29, v14
	v_fma_f16 v29, v33, s19, -v77
	v_mul_f16_sdwa v89, v33, s19 dst_sel:DWORD dst_unused:UNUSED_PAD src0_sel:WORD_1 src1_sel:DWORD
	v_add_f16_e32 v15, v29, v15
	;; [unrolled: 6-line block ×5, first 2 shown]
	v_fma_f16 v29, v43, s24, v74
	v_mul_f16_sdwa v80, v43, s18 dst_sel:DWORD dst_unused:UNUSED_PAD src0_sel:WORD_1 src1_sel:DWORD
	s_mov_b32 s5, 0xb770
	v_add_f16_e32 v14, v29, v14
	v_fma_f16 v29, v42, s17, -v80
	v_mul_f16_sdwa v91, v42, s17 dst_sel:DWORD dst_unused:UNUSED_PAD src0_sel:WORD_1 src1_sel:DWORD
	v_pk_mul_f16 v31, v36, s5 op_sel_hi:[1,0]
	v_add_f16_e32 v100, v29, v15
	v_fma_f16 v15, v43, s18, v91
	v_pk_fma_f16 v65, v35, s17, v31 op_sel:[0,0,1] op_sel_hi:[1,0,0] neg_lo:[0,0,1] neg_hi:[0,0,1]
	v_pk_mul_f16 v82, v37, s24 op_sel_hi:[1,0]
	v_add_f16_e32 v30, v15, v16
	v_pk_fma_f16 v66, v34, s19, v82 op_sel:[0,0,1] op_sel_hi:[1,0,0] neg_lo:[0,0,1] neg_hi:[0,0,1]
	v_add_f16_e32 v15, v17, v65
	v_pk_mul_f16 v83, v38, s4 op_sel_hi:[1,0]
	v_add_f16_e32 v15, v66, v15
	v_pk_fma_f16 v67, v33, s7, v83 op_sel:[0,0,1] op_sel_hi:[1,0,0] neg_lo:[0,0,1] neg_hi:[0,0,1]
	v_pk_mul_f16 v84, v41, s16 op_sel_hi:[1,0]
	v_add_f16_e32 v15, v67, v15
	v_pk_fma_f16 v69, v40, s9, v84 op_sel:[0,0,1] op_sel_hi:[1,0,0] neg_lo:[0,0,1] neg_hi:[0,0,1]
	;; [unrolled: 3-line block ×3, first 2 shown]
	v_mul_f16_sdwa v73, v48, s18 dst_sel:DWORD dst_unused:UNUSED_PAD src0_sel:WORD_1 src1_sel:DWORD
	v_add_f16_e32 v16, v70, v15
	v_fma_f16 v15, v44, s17, -v73
	v_mul_f16_sdwa v78, v44, s14 dst_sel:DWORD dst_unused:UNUSED_PAD src0_sel:WORD_1 src1_sel:DWORD
	s_mov_b32 s4, 0x388bb5ac
	v_add_f16_e32 v15, v15, v6
	v_fma_f16 v6, v48, s20, v78
	s_mov_b32 s23, 0xba95bb7b
	v_pk_mul_f16 v92, v35, s4 op_sel:[1,0]
	s_mov_b32 s4, 0xb5acb9fd
	v_add_f16_e32 v6, v6, v14
	v_pk_fma_f16 v14, v36, s23, v92 op_sel_hi:[0,1,1]
	s_mov_b32 s24, 0xbb7b394e
	v_pk_mul_f16 v93, v34, s4 op_sel:[1,0]
	s_mov_b32 s4, 0xbbc43b15
	v_pk_add_f16 v14, v17, v14 op_sel:[1,0]
	v_pk_fma_f16 v29, v37, s24, v93 op_sel_hi:[0,1,1]
	s_mov_b32 s25, 0xb3a83770
	v_pk_mul_f16 v94, v33, s4 op_sel:[1,0]
	s_mov_b32 s4, 0xb9fd2fb7
	v_pk_add_f16 v14, v29, v14
	v_pk_fma_f16 v29, v38, s25, v94 op_sel_hi:[0,1,1]
	v_pk_mul_f16 v95, v40, s4 op_sel:[1,0]
	s_mov_b32 s4, 0x2fb7bbc4
	v_pk_add_f16 v14, v29, v14
	v_pk_fma_f16 v29, v41, s26, v95 op_sel_hi:[0,1,1]
	;; [unrolled: 4-line block ×3, first 2 shown]
	v_pk_mul_f16 v97, v44, s4 op_sel:[1,0]
	v_pk_add_f16 v14, v29, v14
	v_pk_fma_f16 v29, v48, s28, v97 op_sel_hi:[0,1,1]
	v_mul_f16_sdwa v99, v44, s9 dst_sel:DWORD dst_unused:UNUSED_PAD src0_sel:WORD_1 src1_sel:DWORD
	v_pk_add_f16 v29, v29, v14
	v_fma_f16 v14, v48, s16, v99
	v_pk_fma_f16 v81, v35, s17, v31 op_sel:[0,0,1] op_sel_hi:[1,0,0]
	v_add_f16_e32 v30, v14, v30
	v_pk_fma_f16 v82, v34, s19, v82 op_sel:[0,0,1] op_sel_hi:[1,0,0]
	v_add_f16_sdwa v14, v17, v81 dst_sel:DWORD dst_unused:UNUSED_PAD src0_sel:WORD_1 src1_sel:WORD_1
	v_pk_fma_f16 v83, v33, s7, v83 op_sel:[0,0,1] op_sel_hi:[1,0,0]
	v_add_f16_sdwa v14, v82, v14 dst_sel:DWORD dst_unused:UNUSED_PAD src0_sel:WORD_1 src1_sel:DWORD
	v_pk_fma_f16 v84, v40, s9, v84 op_sel:[0,0,1] op_sel_hi:[1,0,0]
	v_add_f16_sdwa v14, v83, v14 dst_sel:DWORD dst_unused:UNUSED_PAD src0_sel:WORD_1 src1_sel:DWORD
	v_pk_mul_f16 v86, v48, s15 op_sel_hi:[1,0]
	v_pk_fma_f16 v85, v42, s14, v85 op_sel:[0,0,1] op_sel_hi:[1,0,0]
	v_add_f16_sdwa v14, v84, v14 dst_sel:DWORD dst_unused:UNUSED_PAD src0_sel:WORD_1 src1_sel:DWORD
	v_pk_fma_f16 v71, v44, s8, v86 op_sel:[0,0,1] op_sel_hi:[1,0,0] neg_lo:[0,0,1] neg_hi:[0,0,1]
	v_pk_fma_f16 v86, v44, s8, v86 op_sel:[0,0,1] op_sel_hi:[1,0,0]
	v_add_f16_sdwa v14, v85, v14 dst_sel:DWORD dst_unused:UNUSED_PAD src0_sel:WORD_1 src1_sel:DWORD
	v_mul_f16_sdwa v98, v48, s16 dst_sel:DWORD dst_unused:UNUSED_PAD src0_sel:WORD_1 src1_sel:DWORD
	v_add_f16_sdwa v31, v86, v14 dst_sel:DWORD dst_unused:UNUSED_PAD src0_sel:WORD_1 src1_sel:DWORD
	v_fma_f16 v14, v44, s9, -v98
	s_movk_i32 s4, 0x70
	v_add_f16_e32 v16, v71, v16
	v_add_f16_e32 v14, v14, v100
	v_cmp_gt_u32_e32 vcc, s4, v5
	s_barrier
	s_and_saveexec_b64 s[4:5], vcc
	s_cbranch_execz .LBB0_21
; %bb.20:
	v_mul_f16_e32 v105, 0xb94e, v36
	v_mul_f16_e32 v111, 0x3bf1, v37
	v_sub_f16_e32 v88, v88, v105
	v_mul_f16_e32 v103, 0xb5ac, v35
	v_mul_f16_e32 v117, 0xba95, v38
	v_sub_f16_e32 v87, v87, v111
	v_add_f16_sdwa v88, v17, v88 dst_sel:DWORD dst_unused:UNUSED_PAD src0_sel:WORD_1 src1_sel:DWORD
	v_mul_f16_e32 v109, 0xb9fd, v34
	v_mul_f16_e32 v123, 0x33a8, v41
	v_add_f16_e32 v87, v87, v88
	v_sub_f16_e32 v89, v89, v117
	v_add_f16_e32 v51, v103, v51
	v_mul_f16_e32 v115, 0x3b15, v33
	v_add_f16_e32 v87, v89, v87
	v_mul_f16_e32 v89, 0x3770, v43
	v_sub_f16_e32 v90, v90, v123
	v_add_f16_e32 v51, v17, v51
	v_add_f16_e32 v49, v109, v49
	v_mul_f16_e32 v121, 0x2fb7, v40
	v_add_f16_e32 v87, v90, v87
	v_sub_f16_e32 v89, v91, v89
	v_add_f16_e32 v49, v49, v51
	v_add_f16_e32 v50, v115, v50
	v_mul_f16_e32 v88, 0xbbc4, v42
	v_add_f16_e32 v87, v89, v87
	v_mul_f16_e32 v89, 0xbb7b, v48
	v_add_f16_e32 v49, v50, v49
	v_add_f16_e32 v50, v121, v54
	v_sub_f16_e32 v89, v99, v89
	v_mul_f16_e32 v99, 0x388b, v44
	v_add_f16_e32 v49, v50, v49
	v_add_f16_e32 v50, v88, v55
	v_mul_f16_e32 v102, 0xbbf1, v36
	v_add_f16_e32 v49, v50, v49
	v_add_f16_e32 v50, v99, v60
	v_mul_f16_e32 v108, 0xb3a8, v37
	v_add_f16_e32 v49, v50, v49
	v_sub_f16_e32 v50, v62, v102
	v_mul_f16_e32 v114, 0x3b7b, v38
	v_add_f16_sdwa v50, v17, v50 dst_sel:DWORD dst_unused:UNUSED_PAD src0_sel:WORD_1 src1_sel:DWORD
	v_sub_f16_e32 v51, v63, v108
	v_mul_f16_e32 v101, 0x2fb7, v35
	v_mul_f16_e32 v120, 0x3770, v41
	v_add_f16_e32 v50, v51, v50
	v_sub_f16_e32 v51, v68, v114
	v_mul_f16_e32 v104, 0xb9fd, v35
	v_mul_f16_e32 v107, 0xbbc4, v34
	;; [unrolled: 1-line block ×3, first 2 shown]
	v_add_f16_e32 v50, v51, v50
	v_sub_f16_e32 v51, v72, v120
	v_add_f16_e32 v46, v101, v46
	v_pk_add_f16 v18, v17, v18
	v_mul_f16_e32 v100, 0x388b, v35
	v_mul_f16_e32 v110, 0x2fb7, v34
	;; [unrolled: 1-line block ×4, first 2 shown]
	v_add_f16_e32 v75, v104, v75
	v_add_f16_e32 v50, v51, v50
	v_sub_f16_e32 v51, v74, v111
	v_add_f16_e32 v46, v17, v46
	v_add_f16_e32 v45, v107, v45
	v_pk_add_f16 v18, v18, v23
	v_mul_f16_e32 v106, 0xb5ac, v34
	v_mul_f16_e32 v116, 0x388b, v33
	v_add_f16_e32 v76, v110, v76
	v_add_f16_e32 v75, v17, v75
	v_add_f16_e32 v50, v51, v50
	v_sub_f16_e32 v51, v78, v91
	v_add_f16_e32 v45, v45, v46
	v_add_f16_e32 v46, v113, v47
	;; [unrolled: 1-line block ×3, first 2 shown]
	v_pk_add_f16 v18, v18, v24
	v_mul_f16_e32 v112, 0xbbc4, v33
	v_mul_f16_e32 v122, 0xbbc4, v40
	v_add_f16_e32 v75, v76, v75
	v_add_f16_e32 v77, v116, v77
	;; [unrolled: 1-line block ×5, first 2 shown]
	v_pk_add_f16 v18, v18, v25
	v_mul_f16_e32 v118, 0xb9fd, v40
	v_mul_f16_e32 v119, 0x3b15, v40
	;; [unrolled: 1-line block ×3, first 2 shown]
	v_add_f16_e32 v75, v77, v75
	v_add_f16_e32 v79, v122, v79
	;; [unrolled: 1-line block ×4, first 2 shown]
	v_pk_add_f16 v18, v18, v26
	v_mul_f16_e32 v124, 0x2fb7, v42
	v_mul_f16_e32 v105, 0x388b, v42
	;; [unrolled: 1-line block ×3, first 2 shown]
	v_add_f16_e32 v75, v79, v75
	v_add_f16_e32 v79, v117, v80
	;; [unrolled: 1-line block ×6, first 2 shown]
	v_pk_add_f16 v18, v18, v27
	v_mul_f16_e32 v123, 0x3b15, v44
	v_mul_f16_e32 v90, 0xb9fd, v44
	v_add_f16_e32 v87, v89, v87
	v_pk_mul_f16 v89, v36, s23 op_sel_hi:[0,1]
	v_add_f16_e32 v75, v79, v75
	v_add_f16_e32 v79, v122, v98
	;; [unrolled: 1-line block ×6, first 2 shown]
	v_pk_add_f16 v18, v18, v28
	v_add_f16_e32 v75, v79, v75
	v_pk_add_f16 v79, v92, v89 neg_lo:[0,1] neg_hi:[0,1]
	v_add_f16_e32 v45, v46, v45
	v_add_f16_e32 v46, v90, v56
	;; [unrolled: 1-line block ×4, first 2 shown]
	s_mov_b32 s23, 0xffff
	v_pk_add_f16 v18, v18, v21
	v_pk_mul_f16 v104, v37, s24 op_sel_hi:[0,1]
	v_add_f16_e32 v45, v46, v45
	v_lshrrev_b32_e32 v46, 16, v79
	v_add_f16_e32 v47, v51, v47
	v_bfi_b32 v51, s23, v81, v65
	v_pk_add_f16 v18, v18, v22
	v_pk_mul_f16 v110, v38, s25 op_sel_hi:[0,1]
	v_pk_add_f16 v80, v93, v104 neg_lo:[0,1] neg_hi:[0,1]
	v_add_f16_sdwa v46, v17, v46 dst_sel:DWORD dst_unused:UNUSED_PAD src0_sel:WORD_1 src1_sel:DWORD
	v_bfi_b32 v52, s23, v82, v66
	v_pk_add_f16 v18, v18, v19
	v_pk_add_f16 v19, v17, v51
	v_pk_mul_f16 v76, v41, s26 op_sel_hi:[0,1]
	v_pk_add_f16 v89, v94, v110 neg_lo:[0,1] neg_hi:[0,1]
	v_add_f16_sdwa v93, v17, v79 dst_sel:DWORD dst_unused:UNUSED_PAD src0_sel:WORD_1 src1_sel:DWORD
	v_add_f16_sdwa v46, v80, v46 dst_sel:DWORD dst_unused:UNUSED_PAD src0_sel:WORD_1 src1_sel:DWORD
	v_bfi_b32 v53, s23, v83, v67
	v_pk_add_f16 v19, v52, v19
	v_pk_mul_f16 v116, v43, s27 op_sel_hi:[0,1]
	v_pk_add_f16 v76, v95, v76 neg_lo:[0,1] neg_hi:[0,1]
	v_add_f16_e32 v93, v80, v93
	v_add_f16_sdwa v46, v89, v46 dst_sel:DWORD dst_unused:UNUSED_PAD src0_sel:WORD_1 src1_sel:DWORD
	v_bfi_b32 v54, s23, v84, v69
	v_pk_add_f16 v19, v53, v19
	v_pk_mul_f16 v77, v48, s28 op_sel_hi:[0,1]
	v_pk_add_f16 v92, v96, v116 neg_lo:[0,1] neg_hi:[0,1]
	v_add_f16_e32 v93, v89, v93
	v_add_f16_sdwa v46, v76, v46 dst_sel:DWORD dst_unused:UNUSED_PAD src0_sel:WORD_1 src1_sel:DWORD
	v_bfi_b32 v55, s23, v85, v70
	v_pk_add_f16 v19, v54, v19
	v_pk_add_f16 v77, v97, v77 neg_lo:[0,1] neg_hi:[0,1]
	v_add_f16_e32 v93, v76, v93
	v_add_f16_sdwa v46, v92, v46 dst_sel:DWORD dst_unused:UNUSED_PAD src0_sel:WORD_1 src1_sel:DWORD
	v_bfi_b32 v56, s23, v86, v71
	v_pk_add_f16 v18, v18, v20
	v_pk_add_f16 v19, v55, v19
	v_add_f16_e32 v93, v92, v93
	v_add_f16_sdwa v46, v77, v46 dst_sel:DWORD dst_unused:UNUSED_PAD src0_sel:WORD_1 src1_sel:DWORD
	v_mad_u32_u24 v57, v5, 48, v0
	v_pk_add_f16 v18, v18, v39
	v_pk_add_f16 v19, v56, v19
	v_add_f16_e32 v93, v77, v93
	ds_write2_b32 v57, v18, v19 offset1:1
	v_pack_b32_f16 v18, v45, v50
	v_pack_b32_f16 v19, v47, v46
	ds_write2_b32 v57, v19, v18 offset0:2 offset1:3
	v_pack_b32_f16 v18, v75, v87
	v_pack_b32_f16 v19, v49, v93
	ds_write2_b32 v57, v19, v18 offset0:4 offset1:5
	v_pk_mul_f16 v18, v36, s15 op_sel_hi:[1,0]
	v_pk_mul_f16 v19, v37, s18 op_sel_hi:[1,0]
	v_pk_fma_f16 v24, v35, s8, v18 op_sel:[0,0,1] op_sel_hi:[1,0,0]
	v_pk_fma_f16 v18, v35, s8, v18 op_sel:[0,0,1] op_sel_hi:[1,0,0] neg_lo:[0,0,1] neg_hi:[0,0,1]
	v_bfi_b32 v25, s23, v24, v18
	v_pk_fma_f16 v26, v34, s17, v19 op_sel:[0,0,1] op_sel_hi:[1,0,0]
	v_pk_fma_f16 v19, v34, s17, v19 op_sel:[0,0,1] op_sel_hi:[1,0,0] neg_lo:[0,0,1] neg_hi:[0,0,1]
	v_pk_mul_f16 v20, v38, s20 op_sel_hi:[1,0]
	v_pk_add_f16 v25, v17, v25
	v_bfi_b32 v27, s23, v26, v19
	v_pk_add_f16 v25, v27, v25
	v_pk_fma_f16 v27, v33, s14, v20 op_sel:[0,0,1] op_sel_hi:[1,0,0]
	v_pk_fma_f16 v20, v33, s14, v20 op_sel:[0,0,1] op_sel_hi:[1,0,0] neg_lo:[0,0,1] neg_hi:[0,0,1]
	v_pk_mul_f16 v21, v41, s21 op_sel_hi:[1,0]
	v_bfi_b32 v28, s23, v27, v20
	v_pk_add_f16 v25, v28, v25
	v_pk_fma_f16 v28, v40, s19, v21 op_sel:[0,0,1] op_sel_hi:[1,0,0]
	v_pk_fma_f16 v21, v40, s19, v21 op_sel:[0,0,1] op_sel_hi:[1,0,0] neg_lo:[0,0,1] neg_hi:[0,0,1]
	v_bfi_b32 v18, s23, v18, v24
	v_pk_mul_f16 v22, v43, s16 op_sel_hi:[1,0]
	v_bfi_b32 v33, s23, v28, v21
	v_pk_add_f16 v17, v17, v18
	v_bfi_b32 v18, s23, v19, v26
	v_pk_add_f16 v25, v33, v25
	v_pk_fma_f16 v33, v42, s9, v22 op_sel:[0,0,1] op_sel_hi:[1,0,0]
	v_pk_fma_f16 v22, v42, s9, v22 op_sel:[0,0,1] op_sel_hi:[1,0,0] neg_lo:[0,0,1] neg_hi:[0,0,1]
	v_pk_add_f16 v17, v18, v17
	v_bfi_b32 v18, s23, v20, v27
	v_pk_mul_f16 v23, v48, s22 op_sel_hi:[1,0]
	v_bfi_b32 v34, s23, v33, v22
	v_pk_add_f16 v17, v18, v17
	v_bfi_b32 v18, s23, v21, v28
	v_pk_add_f16 v25, v34, v25
	v_pk_fma_f16 v34, v44, s7, v23 op_sel:[0,0,1] op_sel_hi:[1,0,0]
	v_pk_fma_f16 v23, v44, s7, v23 op_sel:[0,0,1] op_sel_hi:[1,0,0] neg_lo:[0,0,1] neg_hi:[0,0,1]
	v_pk_add_f16 v17, v18, v17
	v_bfi_b32 v18, s23, v22, v33
	v_bfi_b32 v35, s23, v34, v23
	v_pk_add_f16 v17, v18, v17
	v_bfi_b32 v18, s23, v23, v34
	v_pk_add_f16 v25, v35, v25
	v_pk_add_f16 v17, v18, v17
	ds_write2_b32 v57, v25, v17 offset0:6 offset1:7
	v_perm_b32 v17, v30, v14, s6
	v_perm_b32 v18, v29, v11, s6
	ds_write2_b32 v57, v17, v18 offset0:8 offset1:9
	v_bfi_b32 v17, s23, v15, v29
	v_perm_b32 v18, v6, v12, s6
	ds_write2_b32 v57, v18, v17 offset0:10 offset1:11
	v_perm_b32 v17, v31, v16, s6
	ds_write_b32 v57, v17 offset:48
.LBB0_21:
	s_or_b64 exec, exec, s[4:5]
	s_movk_i32 s4, 0x4f
	v_add_u32_e32 v23, 0xb6, v5
	v_mul_lo_u16_sdwa v33, v5, s4 dst_sel:DWORD dst_unused:UNUSED_PAD src0_sel:BYTE_0 src1_sel:DWORD
	s_movk_i32 s4, 0x4ec5
	v_lshrrev_b16_e32 v28, 10, v33
	v_mul_u32_u24_sdwa v25, v23, s4 dst_sel:DWORD dst_unused:UNUSED_PAD src0_sel:WORD_0 src1_sel:DWORD
	v_mul_lo_u16_e32 v17, 13, v28
	v_lshrrev_b32_e32 v41, 18, v25
	v_sub_u16_e32 v40, v5, v17
	v_mov_b32_e32 v17, 3
	v_mul_lo_u16_e32 v20, 13, v41
	v_mul_u32_u24_sdwa v17, v40, v17 dst_sel:DWORD dst_unused:UNUSED_PAD src0_sel:BYTE_0 src1_sel:DWORD
	v_sub_u16_e32 v42, v23, v20
	v_lshlrev_b32_e32 v17, 2, v17
	v_mul_u32_u24_e32 v20, 3, v42
	s_waitcnt lgkmcnt(0)
	s_barrier
	global_load_dwordx3 v[17:19], v17, s[12:13]
	v_lshlrev_b32_e32 v20, 2, v20
	global_load_dwordx3 v[20:22], v20, s[12:13]
	ds_read2_b32 v[26:27], v0 offset1:182
	ds_read2_b32 v[34:35], v13 offset0:68 offset1:250
	v_add_u32_e32 v13, 0x500, v0
	v_add_u32_e32 v24, 0xb00, v0
	ds_read2_b32 v[36:37], v13 offset0:44 offset1:226
	ds_read2_b32 v[38:39], v24 offset0:24 offset1:206
	s_waitcnt lgkmcnt(3)
	v_lshrrev_b32_e32 v43, 16, v26
	s_waitcnt lgkmcnt(2)
	v_lshrrev_b32_e32 v13, 16, v34
	v_lshrrev_b32_e32 v24, 16, v35
	s_waitcnt lgkmcnt(1)
	v_lshrrev_b32_e32 v45, 16, v36
	s_waitcnt lgkmcnt(0)
	v_lshrrev_b32_e32 v46, 16, v38
	v_lshrrev_b32_e32 v47, 16, v37
	;; [unrolled: 1-line block ×4, first 2 shown]
	s_waitcnt vmcnt(0)
	s_barrier
	s_mov_b32 s6, 0xffff
	v_cmp_gt_u32_e32 vcc, 26, v5
	v_mul_f16_sdwa v49, v17, v45 dst_sel:DWORD dst_unused:UNUSED_PAD src0_sel:WORD_1 src1_sel:DWORD
	v_mul_f16_sdwa v50, v17, v36 dst_sel:DWORD dst_unused:UNUSED_PAD src0_sel:WORD_1 src1_sel:DWORD
	;; [unrolled: 1-line block ×12, first 2 shown]
	v_fma_f16 v36, v17, v36, v49
	v_fma_f16 v17, v17, v45, -v50
	v_fma_f16 v38, v18, v38, v51
	v_fma_f16 v18, v18, v46, -v52
	;; [unrolled: 2-line block ×6, first 2 shown]
	v_sub_f16_e32 v38, v26, v38
	v_sub_f16_e32 v18, v43, v18
	;; [unrolled: 1-line block ×8, first 2 shown]
	v_fma_f16 v26, v26, 2.0, -v38
	v_fma_f16 v37, v43, 2.0, -v18
	;; [unrolled: 1-line block ×4, first 2 shown]
	v_add_f16_e32 v39, v38, v13
	v_sub_f16_e32 v43, v18, v24
	v_fma_f16 v19, v19, 2.0, -v35
	v_fma_f16 v20, v20, 2.0, -v22
	v_add_f16_e32 v13, v34, v22
	v_sub_f16_e32 v24, v21, v35
	v_sub_f16_e32 v22, v26, v36
	;; [unrolled: 1-line block ×3, first 2 shown]
	v_fma_f16 v35, v38, 2.0, -v39
	v_mul_u32_u24_e32 v38, 0xd0, v28
	v_mov_b32_e32 v28, 2
	v_fma_f16 v18, v18, 2.0, -v43
	v_fma_f16 v26, v26, 2.0, -v22
	v_fma_f16 v36, v37, 2.0, -v17
	v_lshlrev_b32_sdwa v40, v28, v40 dst_sel:DWORD dst_unused:UNUSED_PAD src0_sel:DWORD src1_sel:BYTE_0
	v_fma_f16 v27, v27, 2.0, -v34
	v_fma_f16 v44, v44, 2.0, -v21
	v_add3_u32 v38, 0, v38, v40
	v_pack_b32_f16 v26, v26, v36
	v_pack_b32_f16 v18, v35, v18
	v_sub_f16_e32 v19, v27, v19
	v_sub_f16_e32 v20, v44, v20
	ds_write2_b32 v38, v26, v18 offset1:13
	v_pack_b32_f16 v17, v22, v17
	v_pack_b32_f16 v18, v39, v43
	v_fma_f16 v34, v34, 2.0, -v13
	v_fma_f16 v21, v21, 2.0, -v24
	;; [unrolled: 1-line block ×4, first 2 shown]
	ds_write2_b32 v38, v17, v18 offset0:26 offset1:39
	v_mul_u32_u24_e32 v17, 0xd0, v41
	v_lshlrev_b32_e32 v18, 2, v42
	v_add3_u32 v17, 0, v17, v18
	v_pack_b32_f16 v18, v27, v37
	v_pack_b32_f16 v21, v34, v21
	ds_write2_b32 v17, v18, v21 offset1:13
	v_pack_b32_f16 v18, v19, v20
	v_pack_b32_f16 v19, v13, v24
	v_add_u32_e32 v21, 0xd00, v0
	ds_write2_b32 v17, v18, v19 offset0:26 offset1:39
	s_waitcnt lgkmcnt(0)
	s_barrier
	ds_read2_b32 v[17:18], v0 offset1:208
	ds_read2_b32 v[19:20], v32 offset0:32 offset1:240
	ds_read2_b32 v[21:22], v21 offset1:208
	ds_read_b32 v32, v0 offset:4992
                                        ; implicit-def: $vgpr26
                                        ; implicit-def: $vgpr27
	s_and_saveexec_b64 s[4:5], vcc
	s_cbranch_execz .LBB0_23
; %bb.22:
	v_add_u32_e32 v6, 0x280, v0
	ds_read2_b32 v[13:14], v6 offset0:22 offset1:230
	v_add_u32_e32 v6, 0x900, v0
	ds_read2_b32 v[11:12], v6 offset0:22 offset1:230
	;; [unrolled: 2-line block ×3, first 2 shown]
	ds_read_b32 v27, v0 offset:5720
	ds_read_u16 v29, v0 offset:2394
	s_waitcnt lgkmcnt(4)
	v_lshrrev_b32_e32 v24, 16, v13
	v_lshrrev_b32_e32 v30, 16, v14
	s_waitcnt lgkmcnt(3)
	v_lshrrev_b32_e32 v6, 16, v12
	s_waitcnt lgkmcnt(2)
	;; [unrolled: 2-line block ×4, first 2 shown]
	v_bfi_b32 v29, s6, v29, v15
.LBB0_23:
	s_or_b64 exec, exec, s[4:5]
	v_lshrrev_b16_e32 v39, 12, v33
	v_mul_lo_u16_e32 v33, 52, v39
	v_sub_u16_e32 v40, v5, v33
	v_mov_b32_e32 v33, 6
	v_mul_u32_u24_sdwa v33, v40, v33 dst_sel:DWORD dst_unused:UNUSED_PAD src0_sel:BYTE_0 src1_sel:DWORD
	v_lshlrev_b32_e32 v41, 2, v33
	global_load_dwordx4 v[33:36], v41, s[12:13] offset:156
	global_load_dwordx2 v[37:38], v41, s[12:13] offset:172
	s_waitcnt lgkmcnt(3)
	v_lshrrev_b32_e32 v41, 16, v18
	s_waitcnt lgkmcnt(2)
	v_lshrrev_b32_e32 v42, 16, v19
	;; [unrolled: 2-line block ×4, first 2 shown]
	v_lshrrev_b32_e32 v43, 16, v20
	v_lshrrev_b32_e32 v44, 16, v21
	s_movk_i32 s9, 0x2b26
	s_mov_b32 s6, 0xbb00
	s_mov_b32 s8, 0xbcab
	s_movk_i32 s7, 0x39e0
	s_mov_b32 s14, 0xb9e0
	s_mov_b32 s16, 0xb574
	s_movk_i32 s17, 0x3574
	s_mov_b32 s15, 0xb70e
	v_lshlrev_b32_sdwa v28, v28, v40 dst_sel:DWORD dst_unused:UNUSED_PAD src0_sel:DWORD src1_sel:BYTE_0
	s_waitcnt vmcnt(0)
	s_barrier
	v_mul_f16_sdwa v47, v33, v41 dst_sel:DWORD dst_unused:UNUSED_PAD src0_sel:WORD_1 src1_sel:DWORD
	v_mul_f16_sdwa v48, v33, v18 dst_sel:DWORD dst_unused:UNUSED_PAD src0_sel:WORD_1 src1_sel:DWORD
	;; [unrolled: 1-line block ×12, first 2 shown]
	v_fma_f16 v18, v33, v18, v47
	v_fma_f16 v33, v33, v41, -v48
	v_fma_f16 v19, v34, v19, v49
	v_fma_f16 v34, v34, v42, -v50
	;; [unrolled: 2-line block ×6, first 2 shown]
	v_add_f16_e32 v41, v18, v32
	v_add_f16_e32 v42, v33, v38
	v_sub_f16_e32 v18, v18, v32
	v_sub_f16_e32 v32, v33, v38
	v_add_f16_e32 v33, v19, v22
	v_add_f16_e32 v38, v34, v37
	v_sub_f16_e32 v19, v19, v22
	v_sub_f16_e32 v22, v34, v37
	;; [unrolled: 4-line block ×4, first 2 shown]
	v_sub_f16_e32 v41, v41, v34
	v_sub_f16_e32 v42, v42, v37
	;; [unrolled: 1-line block ×4, first 2 shown]
	v_add_f16_e32 v45, v20, v19
	v_add_f16_e32 v46, v21, v22
	v_sub_f16_e32 v47, v20, v19
	v_sub_f16_e32 v48, v21, v22
	;; [unrolled: 1-line block ×3, first 2 shown]
	v_add_f16_e32 v34, v34, v35
	v_add_f16_e32 v35, v37, v36
	v_sub_f16_e32 v20, v18, v20
	v_sub_f16_e32 v21, v32, v21
	;; [unrolled: 1-line block ×3, first 2 shown]
	v_add_f16_e32 v18, v45, v18
	v_add_f16_e32 v32, v46, v32
	v_mul_f16_e32 v36, 0x3a52, v41
	v_mul_f16_e32 v37, 0x3a52, v42
	;; [unrolled: 1-line block ×7, first 2 shown]
	v_add_f16_e32 v49, v34, v17
	v_add_f16_sdwa v17, v35, v17 dst_sel:DWORD dst_unused:UNUSED_PAD src0_sel:DWORD src1_sel:WORD_1
	v_mul_f16_e32 v48, 0xbb00, v22
	v_fma_f16 v33, v33, s9, v36
	v_fma_f16 v38, v38, s9, v37
	v_fma_f16 v41, v43, s7, -v41
	v_fma_f16 v42, v44, s7, -v42
	;; [unrolled: 1-line block ×3, first 2 shown]
	v_fma_f16 v34, v34, s8, v49
	v_fma_f16 v35, v35, s8, v17
	v_fma_f16 v37, v44, s14, -v37
	v_fma_f16 v43, v20, s16, v45
	v_fma_f16 v44, v21, s16, v46
	v_fma_f16 v19, v19, s6, -v45
	v_fma_f16 v20, v20, s17, -v47
	;; [unrolled: 1-line block ×4, first 2 shown]
	v_add_f16_e32 v33, v33, v34
	v_add_f16_e32 v38, v38, v35
	;; [unrolled: 1-line block ×6, first 2 shown]
	v_fma_f16 v36, v18, s15, v43
	v_fma_f16 v37, v32, s15, v44
	;; [unrolled: 1-line block ×6, first 2 shown]
	v_add_f16_e32 v21, v37, v33
	v_sub_f16_e32 v32, v38, v36
	v_sub_f16_e32 v44, v35, v18
	v_add_f16_e32 v18, v18, v35
	v_mul_u32_u24_e32 v35, 0x5b0, v39
	v_add_f16_e32 v43, v20, v34
	v_sub_f16_e32 v45, v41, v22
	v_add_f16_e32 v46, v19, v42
	v_add3_u32 v28, 0, v35, v28
	v_pack_b32_f16 v17, v49, v17
	v_pack_b32_f16 v21, v21, v32
	v_add_f16_e32 v22, v22, v41
	v_sub_f16_e32 v19, v42, v19
	v_sub_f16_e32 v20, v34, v20
	ds_write2_b32 v28, v17, v21 offset1:52
	v_pack_b32_f16 v17, v43, v44
	v_pack_b32_f16 v21, v45, v46
	v_sub_f16_e32 v33, v33, v37
	v_add_f16_e32 v34, v36, v38
	ds_write2_b32 v28, v17, v21 offset0:104 offset1:156
	v_pack_b32_f16 v17, v22, v19
	v_pack_b32_f16 v18, v20, v18
	v_add_u32_e32 v19, 0x200, v28
	ds_write2_b32 v19, v17, v18 offset0:80 offset1:132
	v_pack_b32_f16 v17, v33, v34
	ds_write_b32 v28, v17 offset:1248
	s_and_saveexec_b64 s[4:5], vcc
	s_cbranch_execz .LBB0_25
; %bb.24:
	v_lshrrev_b32_e32 v17, 20, v25
	v_mul_lo_u16_e32 v17, 52, v17
	v_sub_u16_e32 v23, v23, v17
	v_mul_u32_u24_e32 v17, 6, v23
	v_lshlrev_b32_e32 v25, 2, v17
	global_load_dwordx4 v[17:20], v25, s[12:13] offset:156
	global_load_dwordx2 v[21:22], v25, s[12:13] offset:172
	v_lshrrev_b32_e32 v25, 16, v29
	s_waitcnt vmcnt(1)
	v_mul_f16_sdwa v28, v30, v17 dst_sel:DWORD dst_unused:UNUSED_PAD src0_sel:DWORD src1_sel:WORD_1
	s_waitcnt vmcnt(0)
	v_mul_f16_sdwa v32, v26, v22 dst_sel:DWORD dst_unused:UNUSED_PAD src0_sel:DWORD src1_sel:WORD_1
	v_mul_f16_sdwa v33, v25, v20 dst_sel:DWORD dst_unused:UNUSED_PAD src0_sel:DWORD src1_sel:WORD_1
	;; [unrolled: 1-line block ×11, first 2 shown]
	v_fma_f16 v14, v14, v17, v28
	v_fma_f16 v27, v27, v22, v32
	;; [unrolled: 1-line block ×6, first 2 shown]
	v_fma_f16 v22, v26, v22, -v37
	v_fma_f16 v17, v30, v17, -v38
	;; [unrolled: 1-line block ×6, first 2 shown]
	v_sub_f16_e32 v21, v14, v27
	v_sub_f16_e32 v25, v15, v12
	;; [unrolled: 1-line block ×3, first 2 shown]
	v_add_f16_e32 v28, v17, v22
	v_add_f16_e32 v30, v18, v20
	v_add_f16_e32 v14, v14, v27
	v_add_f16_e32 v11, v11, v16
	v_add_f16_e32 v29, v6, v19
	v_add_f16_e32 v12, v12, v15
	v_sub_f16_e32 v15, v17, v22
	v_sub_f16_e32 v6, v19, v6
	;; [unrolled: 1-line block ×5, first 2 shown]
	v_add_f16_e32 v19, v25, v26
	v_add_f16_e32 v25, v30, v28
	;; [unrolled: 1-line block ×3, first 2 shown]
	v_sub_f16_e32 v20, v28, v29
	v_sub_f16_e32 v22, v29, v30
	v_sub_f16_e32 v27, v14, v12
	v_sub_f16_e32 v31, v12, v11
	v_sub_f16_e32 v33, v15, v6
	v_sub_f16_e32 v34, v6, v16
	v_add_f16_e32 v6, v6, v16
	v_sub_f16_e32 v26, v26, v21
	v_sub_f16_e32 v11, v11, v14
	;; [unrolled: 1-line block ×3, first 2 shown]
	v_mul_f16_e32 v16, 0x3846, v18
	v_add_f16_e32 v18, v19, v21
	v_add_f16_e32 v21, v29, v25
	;; [unrolled: 1-line block ×3, first 2 shown]
	v_sub_f16_e32 v28, v30, v28
	v_mul_f16_e32 v19, 0x3a52, v20
	v_mul_f16_e32 v20, 0x2b26, v22
	;; [unrolled: 1-line block ×5, first 2 shown]
	v_add_f16_e32 v6, v6, v15
	v_mul_f16_e32 v15, 0xbb00, v26
	v_mul_f16_e32 v30, 0xbb00, v14
	v_add_f16_e32 v24, v24, v21
	v_add_f16_e32 v13, v13, v12
	v_fma_f16 v32, v17, s16, v16
	v_fma_f16 v22, v22, s9, v19
	v_fma_f16 v31, v31, s9, v25
	v_fma_f16 v34, v33, s16, v29
	v_fma_f16 v15, v17, s17, -v15
	v_fma_f16 v17, v28, s14, -v19
	;; [unrolled: 1-line block ×4, first 2 shown]
	v_fma_f16 v21, v21, s8, v24
	v_fma_f16 v12, v12, s8, v13
	v_fma_f16 v20, v28, s7, -v20
	v_fma_f16 v16, v26, s6, -v16
	;; [unrolled: 1-line block ×4, first 2 shown]
	v_fma_f16 v30, v18, s15, v32
	v_fma_f16 v32, v6, s15, v34
	v_fma_f16 v15, v18, s15, v15
	v_add_f16_e32 v22, v22, v21
	v_add_f16_e32 v31, v31, v12
	;; [unrolled: 1-line block ×4, first 2 shown]
	v_fma_f16 v25, v6, s15, v25
	v_add_f16_e32 v20, v20, v21
	v_fma_f16 v16, v18, s15, v16
	v_fma_f16 v6, v6, s15, v14
	v_add_f16_e32 v11, v11, v12
	v_add_f16_e32 v35, v15, v17
	v_sub_f16_e32 v36, v19, v25
	v_sub_f16_e32 v18, v20, v16
	v_add_f16_e32 v12, v6, v11
	v_add_f16_e32 v14, v16, v20
	v_sub_f16_e32 v6, v11, v6
	v_sub_f16_e32 v11, v17, v15
	v_add_f16_e32 v15, v25, v19
	v_sub_f16_e32 v16, v22, v30
	v_add_f16_e32 v17, v32, v31
	v_lshl_add_u32 v19, v23, 2, 0
	v_pack_b32_f16 v16, v17, v16
	v_add_u32_e32 v17, 0x1000, v19
	v_pack_b32_f16 v11, v15, v11
	v_pack_b32_f16 v6, v6, v14
	v_add_f16_e32 v33, v30, v22
	v_sub_f16_e32 v34, v31, v32
	ds_write2_b32 v17, v11, v6 offset0:172 offset1:224
	v_pack_b32_f16 v6, v12, v18
	v_pack_b32_f16 v11, v36, v35
	v_add_u32_e32 v12, 0x1400, v19
	v_pack_b32_f16 v13, v13, v24
	ds_write2_b32 v12, v6, v11 offset0:20 offset1:72
	v_pack_b32_f16 v6, v34, v33
	ds_write2_b32 v17, v13, v16 offset0:68 offset1:120
	ds_write_b32 v19, v6 offset:5616
.LBB0_25:
	s_or_b64 exec, exec, s[4:5]
	v_mov_b32_e32 v11, s13
	v_add_co_u32_e32 v6, vcc, s12, v7
	v_addc_co_u32_e32 v7, vcc, v11, v8, vcc
	v_add_co_u32_e32 v8, vcc, s12, v9
	s_waitcnt lgkmcnt(0)
	s_barrier
	v_addc_co_u32_e32 v9, vcc, v11, v10, vcc
	global_load_dword v20, v[6:7], off offset:1404
	global_load_dword v21, v[8:9], off offset:2132
	v_add_u32_e32 v22, 0xb00, v0
	ds_read2_b32 v[10:11], v0 offset1:182
	v_add_u32_e32 v23, 0x500, v0
	v_add_u32_e32 v24, 0x1000, v0
	ds_read2_b32 v[12:13], v22 offset0:24 offset1:206
	ds_read2_b32 v[14:15], v23 offset0:44 offset1:226
	;; [unrolled: 1-line block ×3, first 2 shown]
	s_mov_b32 s5, 0xffff
	s_movk_i32 s4, 0x1000
	v_add_co_u32_e32 v18, vcc, s4, v8
	s_waitcnt vmcnt(0) lgkmcnt(0)
	s_barrier
	v_addc_co_u32_e32 v19, vcc, 0, v9, vcc
	v_pk_mul_f16 v25, v20, v12 op_sel:[0,1]
	v_pk_mul_f16 v26, v21, v13 op_sel:[0,1]
	;; [unrolled: 1-line block ×4, first 2 shown]
	v_pk_fma_f16 v29, v20, v12, v25 op_sel:[0,0,1] op_sel_hi:[1,1,0]
	v_pk_fma_f16 v12, v20, v12, v25 op_sel:[0,0,1] op_sel_hi:[1,0,0] neg_lo:[1,0,0] neg_hi:[1,0,0]
	v_pk_fma_f16 v25, v21, v13, v26 op_sel:[0,0,1] op_sel_hi:[1,1,0]
	v_pk_fma_f16 v13, v21, v13, v26 op_sel:[0,0,1] op_sel_hi:[1,0,0] neg_lo:[1,0,0] neg_hi:[1,0,0]
	;; [unrolled: 2-line block ×4, first 2 shown]
	v_bfi_b32 v16, s5, v26, v16
	v_bfi_b32 v17, s5, v20, v17
	;; [unrolled: 1-line block ×4, first 2 shown]
	v_pk_add_f16 v16, v14, v16 neg_lo:[0,1] neg_hi:[0,1]
	v_pk_add_f16 v17, v15, v17 neg_lo:[0,1] neg_hi:[0,1]
	;; [unrolled: 1-line block ×4, first 2 shown]
	v_pk_fma_f16 v14, v14, 2.0, v16 op_sel_hi:[1,0,1] neg_lo:[0,0,1] neg_hi:[0,0,1]
	v_pk_fma_f16 v15, v15, 2.0, v17 op_sel_hi:[1,0,1] neg_lo:[0,0,1] neg_hi:[0,0,1]
	;; [unrolled: 1-line block ×4, first 2 shown]
	ds_write2_b32 v23, v12, v13 offset0:44 offset1:226
	ds_write2_b32 v24, v16, v17 offset0:68 offset1:250
	ds_write2_b32 v0, v10, v11 offset1:182
	ds_write2_b32 v22, v14, v15 offset0:24 offset1:206
	s_waitcnt lgkmcnt(0)
	s_barrier
	global_load_dword v14, v[6:7], off offset:2860
	global_load_dword v15, v[8:9], off offset:3588
	;; [unrolled: 1-line block ×4, first 2 shown]
	ds_read2_b32 v[6:7], v0 offset1:182
	ds_read2_b32 v[8:9], v22 offset0:24 offset1:206
	ds_read2_b32 v[10:11], v23 offset0:44 offset1:226
	;; [unrolled: 1-line block ×3, first 2 shown]
	s_waitcnt vmcnt(0) lgkmcnt(0)
	s_barrier
	v_pk_mul_f16 v18, v14, v8 op_sel:[0,1]
	v_pk_mul_f16 v19, v15, v9 op_sel:[0,1]
	;; [unrolled: 1-line block ×4, first 2 shown]
	v_pk_fma_f16 v25, v14, v8, v18 op_sel:[0,0,1] op_sel_hi:[1,1,0]
	v_pk_fma_f16 v8, v14, v8, v18 op_sel:[0,0,1] op_sel_hi:[1,0,0] neg_lo:[1,0,0] neg_hi:[1,0,0]
	v_pk_fma_f16 v14, v15, v9, v19 op_sel:[0,0,1] op_sel_hi:[1,1,0]
	v_pk_fma_f16 v9, v15, v9, v19 op_sel:[0,0,1] op_sel_hi:[1,0,0] neg_lo:[1,0,0] neg_hi:[1,0,0]
	;; [unrolled: 2-line block ×4, first 2 shown]
	v_bfi_b32 v8, s5, v25, v8
	v_bfi_b32 v9, s5, v14, v9
	;; [unrolled: 1-line block ×4, first 2 shown]
	v_pk_add_f16 v8, v6, v8 neg_lo:[0,1] neg_hi:[0,1]
	v_pk_add_f16 v9, v7, v9 neg_lo:[0,1] neg_hi:[0,1]
	;; [unrolled: 1-line block ×4, first 2 shown]
	v_pk_fma_f16 v6, v6, 2.0, v8 op_sel_hi:[1,0,1] neg_lo:[0,0,1] neg_hi:[0,0,1]
	v_pk_fma_f16 v7, v7, 2.0, v9 op_sel_hi:[1,0,1] neg_lo:[0,0,1] neg_hi:[0,0,1]
	;; [unrolled: 1-line block ×4, first 2 shown]
	ds_write2_b32 v22, v8, v9 offset0:24 offset1:206
	ds_write2_b32 v24, v12, v13 offset0:68 offset1:250
	ds_write2_b32 v0, v6, v7 offset1:182
	ds_write2_b32 v23, v10, v11 offset0:44 offset1:226
	s_waitcnt lgkmcnt(0)
	s_barrier
	s_and_saveexec_b64 s[4:5], s[0:1]
	s_cbranch_execz .LBB0_27
; %bb.26:
	v_mul_lo_u32 v0, s3, v3
	v_mul_lo_u32 v6, s2, v4
	v_mad_u64_u32 v[3:4], s[0:1], s2, v3, 0
	v_lshl_add_u32 v9, v5, 2, 0
	ds_read2_b32 v[7:8], v9 offset1:182
	v_add3_u32 v4, v4, v6, v0
	v_lshlrev_b64 v[3:4], 2, v[3:4]
	v_mov_b32_e32 v0, s11
	v_add_co_u32_e32 v3, vcc, s10, v3
	v_addc_co_u32_e32 v4, vcc, v0, v4, vcc
	v_lshlrev_b64 v[0:1], 2, v[1:2]
	v_mov_b32_e32 v6, 0
	v_add_co_u32_e32 v10, vcc, v3, v0
	v_addc_co_u32_e32 v4, vcc, v4, v1, vcc
	v_lshlrev_b64 v[0:1], 2, v[5:6]
	v_add_u32_e32 v2, 0x500, v9
	v_add_co_u32_e32 v0, vcc, v10, v0
	v_addc_co_u32_e32 v1, vcc, v4, v1, vcc
	s_waitcnt lgkmcnt(0)
	global_store_dword v[0:1], v7, off
	v_add_u32_e32 v0, 0xb6, v5
	v_mov_b32_e32 v1, v6
	v_lshlrev_b64 v[0:1], 2, v[0:1]
	ds_read2_b32 v[2:3], v2 offset0:44 offset1:226
	v_add_co_u32_e32 v0, vcc, v10, v0
	v_addc_co_u32_e32 v1, vcc, v4, v1, vcc
	global_store_dword v[0:1], v8, off
	v_add_u32_e32 v0, 0x16c, v5
	v_mov_b32_e32 v1, v6
	v_lshlrev_b64 v[0:1], 2, v[0:1]
	v_add_co_u32_e32 v0, vcc, v10, v0
	v_addc_co_u32_e32 v1, vcc, v4, v1, vcc
	s_waitcnt lgkmcnt(0)
	global_store_dword v[0:1], v2, off
	v_add_u32_e32 v0, 0x222, v5
	v_mov_b32_e32 v1, v6
	v_lshlrev_b64 v[0:1], 2, v[0:1]
	v_add_u32_e32 v2, 0xb00, v9
	v_add_co_u32_e32 v0, vcc, v10, v0
	v_addc_co_u32_e32 v1, vcc, v4, v1, vcc
	global_store_dword v[0:1], v3, off
	v_add_u32_e32 v0, 0x2d8, v5
	v_mov_b32_e32 v1, v6
	ds_read2_b32 v[2:3], v2 offset0:24 offset1:206
	v_lshlrev_b64 v[0:1], 2, v[0:1]
	v_add_co_u32_e32 v0, vcc, v10, v0
	v_addc_co_u32_e32 v1, vcc, v4, v1, vcc
	s_waitcnt lgkmcnt(0)
	global_store_dword v[0:1], v2, off
	v_add_u32_e32 v0, 0x38e, v5
	v_mov_b32_e32 v1, v6
	v_lshlrev_b64 v[0:1], 2, v[0:1]
	v_add_u32_e32 v2, 0x1000, v9
	v_add_co_u32_e32 v0, vcc, v10, v0
	v_addc_co_u32_e32 v1, vcc, v4, v1, vcc
	global_store_dword v[0:1], v3, off
	v_add_u32_e32 v0, 0x444, v5
	v_mov_b32_e32 v1, v6
	ds_read2_b32 v[2:3], v2 offset0:68 offset1:250
	v_lshlrev_b64 v[0:1], 2, v[0:1]
	v_add_u32_e32 v5, 0x4fa, v5
	v_add_co_u32_e32 v0, vcc, v10, v0
	v_addc_co_u32_e32 v1, vcc, v4, v1, vcc
	s_waitcnt lgkmcnt(0)
	global_store_dword v[0:1], v2, off
	v_lshlrev_b64 v[0:1], 2, v[5:6]
	v_add_co_u32_e32 v0, vcc, v10, v0
	v_addc_co_u32_e32 v1, vcc, v4, v1, vcc
	global_store_dword v[0:1], v3, off
.LBB0_27:
	s_endpgm
	.section	.rodata,"a",@progbits
	.p2align	6, 0x0
	.amdhsa_kernel fft_rtc_back_len1456_factors_13_4_7_2_2_wgs_182_tpt_182_halfLds_half_op_CI_CI_unitstride_sbrr_C2R_dirReg
		.amdhsa_group_segment_fixed_size 0
		.amdhsa_private_segment_fixed_size 0
		.amdhsa_kernarg_size 104
		.amdhsa_user_sgpr_count 6
		.amdhsa_user_sgpr_private_segment_buffer 1
		.amdhsa_user_sgpr_dispatch_ptr 0
		.amdhsa_user_sgpr_queue_ptr 0
		.amdhsa_user_sgpr_kernarg_segment_ptr 1
		.amdhsa_user_sgpr_dispatch_id 0
		.amdhsa_user_sgpr_flat_scratch_init 0
		.amdhsa_user_sgpr_private_segment_size 0
		.amdhsa_uses_dynamic_stack 0
		.amdhsa_system_sgpr_private_segment_wavefront_offset 0
		.amdhsa_system_sgpr_workgroup_id_x 1
		.amdhsa_system_sgpr_workgroup_id_y 0
		.amdhsa_system_sgpr_workgroup_id_z 0
		.amdhsa_system_sgpr_workgroup_info 0
		.amdhsa_system_vgpr_workitem_id 0
		.amdhsa_next_free_vgpr 125
		.amdhsa_next_free_sgpr 29
		.amdhsa_reserve_vcc 1
		.amdhsa_reserve_flat_scratch 0
		.amdhsa_float_round_mode_32 0
		.amdhsa_float_round_mode_16_64 0
		.amdhsa_float_denorm_mode_32 3
		.amdhsa_float_denorm_mode_16_64 3
		.amdhsa_dx10_clamp 1
		.amdhsa_ieee_mode 1
		.amdhsa_fp16_overflow 0
		.amdhsa_exception_fp_ieee_invalid_op 0
		.amdhsa_exception_fp_denorm_src 0
		.amdhsa_exception_fp_ieee_div_zero 0
		.amdhsa_exception_fp_ieee_overflow 0
		.amdhsa_exception_fp_ieee_underflow 0
		.amdhsa_exception_fp_ieee_inexact 0
		.amdhsa_exception_int_div_zero 0
	.end_amdhsa_kernel
	.text
.Lfunc_end0:
	.size	fft_rtc_back_len1456_factors_13_4_7_2_2_wgs_182_tpt_182_halfLds_half_op_CI_CI_unitstride_sbrr_C2R_dirReg, .Lfunc_end0-fft_rtc_back_len1456_factors_13_4_7_2_2_wgs_182_tpt_182_halfLds_half_op_CI_CI_unitstride_sbrr_C2R_dirReg
                                        ; -- End function
	.section	.AMDGPU.csdata,"",@progbits
; Kernel info:
; codeLenInByte = 9028
; NumSgprs: 33
; NumVgprs: 125
; ScratchSize: 0
; MemoryBound: 0
; FloatMode: 240
; IeeeMode: 1
; LDSByteSize: 0 bytes/workgroup (compile time only)
; SGPRBlocks: 4
; VGPRBlocks: 31
; NumSGPRsForWavesPerEU: 33
; NumVGPRsForWavesPerEU: 125
; Occupancy: 2
; WaveLimiterHint : 1
; COMPUTE_PGM_RSRC2:SCRATCH_EN: 0
; COMPUTE_PGM_RSRC2:USER_SGPR: 6
; COMPUTE_PGM_RSRC2:TRAP_HANDLER: 0
; COMPUTE_PGM_RSRC2:TGID_X_EN: 1
; COMPUTE_PGM_RSRC2:TGID_Y_EN: 0
; COMPUTE_PGM_RSRC2:TGID_Z_EN: 0
; COMPUTE_PGM_RSRC2:TIDIG_COMP_CNT: 0
	.type	__hip_cuid_89549498000f77b8,@object ; @__hip_cuid_89549498000f77b8
	.section	.bss,"aw",@nobits
	.globl	__hip_cuid_89549498000f77b8
__hip_cuid_89549498000f77b8:
	.byte	0                               ; 0x0
	.size	__hip_cuid_89549498000f77b8, 1

	.ident	"AMD clang version 19.0.0git (https://github.com/RadeonOpenCompute/llvm-project roc-6.4.0 25133 c7fe45cf4b819c5991fe208aaa96edf142730f1d)"
	.section	".note.GNU-stack","",@progbits
	.addrsig
	.addrsig_sym __hip_cuid_89549498000f77b8
	.amdgpu_metadata
---
amdhsa.kernels:
  - .args:
      - .actual_access:  read_only
        .address_space:  global
        .offset:         0
        .size:           8
        .value_kind:     global_buffer
      - .offset:         8
        .size:           8
        .value_kind:     by_value
      - .actual_access:  read_only
        .address_space:  global
        .offset:         16
        .size:           8
        .value_kind:     global_buffer
      - .actual_access:  read_only
        .address_space:  global
        .offset:         24
        .size:           8
        .value_kind:     global_buffer
      - .actual_access:  read_only
        .address_space:  global
        .offset:         32
        .size:           8
        .value_kind:     global_buffer
      - .offset:         40
        .size:           8
        .value_kind:     by_value
      - .actual_access:  read_only
        .address_space:  global
        .offset:         48
        .size:           8
        .value_kind:     global_buffer
      - .actual_access:  read_only
        .address_space:  global
        .offset:         56
        .size:           8
        .value_kind:     global_buffer
      - .offset:         64
        .size:           4
        .value_kind:     by_value
      - .actual_access:  read_only
        .address_space:  global
        .offset:         72
        .size:           8
        .value_kind:     global_buffer
      - .actual_access:  read_only
        .address_space:  global
        .offset:         80
        .size:           8
        .value_kind:     global_buffer
      - .actual_access:  read_only
        .address_space:  global
        .offset:         88
        .size:           8
        .value_kind:     global_buffer
      - .actual_access:  write_only
        .address_space:  global
        .offset:         96
        .size:           8
        .value_kind:     global_buffer
    .group_segment_fixed_size: 0
    .kernarg_segment_align: 8
    .kernarg_segment_size: 104
    .language:       OpenCL C
    .language_version:
      - 2
      - 0
    .max_flat_workgroup_size: 182
    .name:           fft_rtc_back_len1456_factors_13_4_7_2_2_wgs_182_tpt_182_halfLds_half_op_CI_CI_unitstride_sbrr_C2R_dirReg
    .private_segment_fixed_size: 0
    .sgpr_count:     33
    .sgpr_spill_count: 0
    .symbol:         fft_rtc_back_len1456_factors_13_4_7_2_2_wgs_182_tpt_182_halfLds_half_op_CI_CI_unitstride_sbrr_C2R_dirReg.kd
    .uniform_work_group_size: 1
    .uses_dynamic_stack: false
    .vgpr_count:     125
    .vgpr_spill_count: 0
    .wavefront_size: 64
amdhsa.target:   amdgcn-amd-amdhsa--gfx906
amdhsa.version:
  - 1
  - 2
...

	.end_amdgpu_metadata
